;; amdgpu-corpus repo=ROCm/rocSPARSE kind=compiled arch=gfx1250 opt=O3
	.amdgcn_target "amdgcn-amd-amdhsa--gfx1250"
	.amdhsa_code_object_version 6
	.section	.text._ZN9rocsparseL14coo2csr_kernelILj512EiiEEvT1_T0_PKS1_PS2_21rocsparse_index_base_,"axG",@progbits,_ZN9rocsparseL14coo2csr_kernelILj512EiiEEvT1_T0_PKS1_PS2_21rocsparse_index_base_,comdat
	.globl	_ZN9rocsparseL14coo2csr_kernelILj512EiiEEvT1_T0_PKS1_PS2_21rocsparse_index_base_ ; -- Begin function _ZN9rocsparseL14coo2csr_kernelILj512EiiEEvT1_T0_PKS1_PS2_21rocsparse_index_base_
	.p2align	8
	.type	_ZN9rocsparseL14coo2csr_kernelILj512EiiEEvT1_T0_PKS1_PS2_21rocsparse_index_base_,@function
_ZN9rocsparseL14coo2csr_kernelILj512EiiEEvT1_T0_PKS1_PS2_21rocsparse_index_base_: ; @_ZN9rocsparseL14coo2csr_kernelILj512EiiEEvT1_T0_PKS1_PS2_21rocsparse_index_base_
; %bb.0:
	s_load_b64 s[2:3], s[0:1], 0x0
	s_bfe_u32 s4, ttmp6, 0x4000c
	s_and_b32 s5, ttmp6, 15
	s_add_co_i32 s4, s4, 1
	s_getreg_b32 s6, hwreg(HW_REG_IB_STS2, 6, 4)
	s_mul_i32 s4, ttmp9, s4
	s_delay_alu instid0(SALU_CYCLE_1) | instskip(SKIP_2) | instid1(SALU_CYCLE_1)
	s_add_co_i32 s5, s5, s4
	s_cmp_eq_u32 s6, 0
	s_cselect_b32 s4, ttmp9, s5
	v_lshl_or_b32 v0, s4, 9, v0
	s_mov_b32 s4, exec_lo
	s_wait_kmcnt 0x0
	s_delay_alu instid0(VALU_DEP_1)
	v_cmpx_gt_i32_e64 s2, v0
	s_cbranch_execz .LBB0_11
; %bb.1:
	s_clause 0x1
	s_load_b128 s[4:7], s[0:1], 0x8
	s_load_b32 s8, s[0:1], 0x18
	s_wait_xcnt 0x0
	s_mov_b32 s0, exec_lo
                                        ; implicit-def: $vgpr1
	v_cmpx_ne_u32_e32 0, v0
	s_xor_b32 s0, exec_lo, s0
	s_cbranch_execz .LBB0_8
; %bb.2:
	s_cmp_lt_i32 s3, 1
	s_cbranch_scc1 .LBB0_6
; %bb.3:
	s_wait_kmcnt 0x0
	v_dual_mov_b32 v1, 0 :: v_dual_add_nc_u32 v2, s8, v0
	v_mov_b32_e32 v3, s3
	s_mov_b32 s1, 0
.LBB0_4:                                ; =>This Inner Loop Header: Depth=1
	s_delay_alu instid0(VALU_DEP_1) | instskip(NEXT) | instid1(VALU_DEP_1)
	v_sub_nc_u32_e32 v4, v3, v1
	v_lshrrev_b32_e32 v4, 1, v4
	s_delay_alu instid0(VALU_DEP_1) | instskip(SKIP_4) | instid1(VALU_DEP_1)
	v_add_nc_u32_e32 v4, v4, v1
	global_load_b32 v5, v4, s[4:5] scale_offset
	s_wait_loadcnt 0x0
	v_cmp_lt_i32_e32 vcc_lo, v5, v2
	v_dual_cndmask_b32 v3, v4, v3 :: v_dual_add_nc_u32 v6, 1, v4
	v_cndmask_b32_e32 v1, v1, v6, vcc_lo
	s_delay_alu instid0(VALU_DEP_1) | instskip(SKIP_1) | instid1(SALU_CYCLE_1)
	v_cmp_ge_i32_e32 vcc_lo, v1, v3
	s_or_b32 s1, vcc_lo, s1
	s_and_not1_b32 exec_lo, exec_lo, s1
	s_cbranch_execnz .LBB0_4
; %bb.5:
	s_or_b32 exec_lo, exec_lo, s1
	s_branch .LBB0_7
.LBB0_6:
	v_mov_b32_e32 v1, 0
.LBB0_7:
	s_wait_kmcnt 0x0
	s_delay_alu instid0(VALU_DEP_1)
	v_add_nc_u32_e32 v1, s8, v1
.LBB0_8:
	s_and_not1_saveexec_b32 s0, s0
	s_cbranch_execz .LBB0_10
; %bb.9:
	s_wait_kmcnt 0x0
	s_add_co_i32 s1, s8, s3
	v_dual_mov_b32 v2, 0 :: v_dual_mov_b32 v3, s8
	v_dual_mov_b32 v0, s2 :: v_dual_mov_b32 v1, s1
	global_store_b32 v2, v3, s[6:7]
.LBB0_10:
	s_wait_xcnt 0x0
	s_or_b32 exec_lo, exec_lo, s0
	s_wait_kmcnt 0x0
	global_store_b32 v0, v1, s[6:7] scale_offset
.LBB0_11:
	s_endpgm
	.section	.rodata,"a",@progbits
	.p2align	6, 0x0
	.amdhsa_kernel _ZN9rocsparseL14coo2csr_kernelILj512EiiEEvT1_T0_PKS1_PS2_21rocsparse_index_base_
		.amdhsa_group_segment_fixed_size 0
		.amdhsa_private_segment_fixed_size 0
		.amdhsa_kernarg_size 28
		.amdhsa_user_sgpr_count 2
		.amdhsa_user_sgpr_dispatch_ptr 0
		.amdhsa_user_sgpr_queue_ptr 0
		.amdhsa_user_sgpr_kernarg_segment_ptr 1
		.amdhsa_user_sgpr_dispatch_id 0
		.amdhsa_user_sgpr_kernarg_preload_length 0
		.amdhsa_user_sgpr_kernarg_preload_offset 0
		.amdhsa_user_sgpr_private_segment_size 0
		.amdhsa_wavefront_size32 1
		.amdhsa_uses_dynamic_stack 0
		.amdhsa_enable_private_segment 0
		.amdhsa_system_sgpr_workgroup_id_x 1
		.amdhsa_system_sgpr_workgroup_id_y 0
		.amdhsa_system_sgpr_workgroup_id_z 0
		.amdhsa_system_sgpr_workgroup_info 0
		.amdhsa_system_vgpr_workitem_id 0
		.amdhsa_next_free_vgpr 7
		.amdhsa_next_free_sgpr 9
		.amdhsa_named_barrier_count 0
		.amdhsa_reserve_vcc 1
		.amdhsa_float_round_mode_32 0
		.amdhsa_float_round_mode_16_64 0
		.amdhsa_float_denorm_mode_32 3
		.amdhsa_float_denorm_mode_16_64 3
		.amdhsa_fp16_overflow 0
		.amdhsa_memory_ordered 1
		.amdhsa_forward_progress 1
		.amdhsa_inst_pref_size 3
		.amdhsa_round_robin_scheduling 0
		.amdhsa_exception_fp_ieee_invalid_op 0
		.amdhsa_exception_fp_denorm_src 0
		.amdhsa_exception_fp_ieee_div_zero 0
		.amdhsa_exception_fp_ieee_overflow 0
		.amdhsa_exception_fp_ieee_underflow 0
		.amdhsa_exception_fp_ieee_inexact 0
		.amdhsa_exception_int_div_zero 0
	.end_amdhsa_kernel
	.section	.text._ZN9rocsparseL14coo2csr_kernelILj512EiiEEvT1_T0_PKS1_PS2_21rocsparse_index_base_,"axG",@progbits,_ZN9rocsparseL14coo2csr_kernelILj512EiiEEvT1_T0_PKS1_PS2_21rocsparse_index_base_,comdat
.Lfunc_end0:
	.size	_ZN9rocsparseL14coo2csr_kernelILj512EiiEEvT1_T0_PKS1_PS2_21rocsparse_index_base_, .Lfunc_end0-_ZN9rocsparseL14coo2csr_kernelILj512EiiEEvT1_T0_PKS1_PS2_21rocsparse_index_base_
                                        ; -- End function
	.set _ZN9rocsparseL14coo2csr_kernelILj512EiiEEvT1_T0_PKS1_PS2_21rocsparse_index_base_.num_vgpr, 7
	.set _ZN9rocsparseL14coo2csr_kernelILj512EiiEEvT1_T0_PKS1_PS2_21rocsparse_index_base_.num_agpr, 0
	.set _ZN9rocsparseL14coo2csr_kernelILj512EiiEEvT1_T0_PKS1_PS2_21rocsparse_index_base_.numbered_sgpr, 9
	.set _ZN9rocsparseL14coo2csr_kernelILj512EiiEEvT1_T0_PKS1_PS2_21rocsparse_index_base_.num_named_barrier, 0
	.set _ZN9rocsparseL14coo2csr_kernelILj512EiiEEvT1_T0_PKS1_PS2_21rocsparse_index_base_.private_seg_size, 0
	.set _ZN9rocsparseL14coo2csr_kernelILj512EiiEEvT1_T0_PKS1_PS2_21rocsparse_index_base_.uses_vcc, 1
	.set _ZN9rocsparseL14coo2csr_kernelILj512EiiEEvT1_T0_PKS1_PS2_21rocsparse_index_base_.uses_flat_scratch, 0
	.set _ZN9rocsparseL14coo2csr_kernelILj512EiiEEvT1_T0_PKS1_PS2_21rocsparse_index_base_.has_dyn_sized_stack, 0
	.set _ZN9rocsparseL14coo2csr_kernelILj512EiiEEvT1_T0_PKS1_PS2_21rocsparse_index_base_.has_recursion, 0
	.set _ZN9rocsparseL14coo2csr_kernelILj512EiiEEvT1_T0_PKS1_PS2_21rocsparse_index_base_.has_indirect_call, 0
	.section	.AMDGPU.csdata,"",@progbits
; Kernel info:
; codeLenInByte = 316
; TotalNumSgprs: 11
; NumVgprs: 7
; ScratchSize: 0
; MemoryBound: 0
; FloatMode: 240
; IeeeMode: 1
; LDSByteSize: 0 bytes/workgroup (compile time only)
; SGPRBlocks: 0
; VGPRBlocks: 0
; NumSGPRsForWavesPerEU: 11
; NumVGPRsForWavesPerEU: 7
; NamedBarCnt: 0
; Occupancy: 16
; WaveLimiterHint : 0
; COMPUTE_PGM_RSRC2:SCRATCH_EN: 0
; COMPUTE_PGM_RSRC2:USER_SGPR: 2
; COMPUTE_PGM_RSRC2:TRAP_HANDLER: 0
; COMPUTE_PGM_RSRC2:TGID_X_EN: 1
; COMPUTE_PGM_RSRC2:TGID_Y_EN: 0
; COMPUTE_PGM_RSRC2:TGID_Z_EN: 0
; COMPUTE_PGM_RSRC2:TIDIG_COMP_CNT: 0
	.section	.text._ZN9rocsparseL14coo2csr_kernelILj512EliEEvT1_T0_PKS1_PS2_21rocsparse_index_base_,"axG",@progbits,_ZN9rocsparseL14coo2csr_kernelILj512EliEEvT1_T0_PKS1_PS2_21rocsparse_index_base_,comdat
	.globl	_ZN9rocsparseL14coo2csr_kernelILj512EliEEvT1_T0_PKS1_PS2_21rocsparse_index_base_ ; -- Begin function _ZN9rocsparseL14coo2csr_kernelILj512EliEEvT1_T0_PKS1_PS2_21rocsparse_index_base_
	.p2align	8
	.type	_ZN9rocsparseL14coo2csr_kernelILj512EliEEvT1_T0_PKS1_PS2_21rocsparse_index_base_,@function
_ZN9rocsparseL14coo2csr_kernelILj512EliEEvT1_T0_PKS1_PS2_21rocsparse_index_base_: ; @_ZN9rocsparseL14coo2csr_kernelILj512EliEEvT1_T0_PKS1_PS2_21rocsparse_index_base_
; %bb.0:
	s_load_b32 s2, s[0:1], 0x0
	s_bfe_u32 s3, ttmp6, 0x4000c
	s_and_b32 s4, ttmp6, 15
	s_add_co_i32 s3, s3, 1
	s_getreg_b32 s5, hwreg(HW_REG_IB_STS2, 6, 4)
	s_mul_i32 s3, ttmp9, s3
	s_delay_alu instid0(SALU_CYCLE_1) | instskip(SKIP_2) | instid1(SALU_CYCLE_1)
	s_add_co_i32 s4, s4, s3
	s_cmp_eq_u32 s5, 0
	s_cselect_b32 s3, ttmp9, s4
	v_lshl_or_b32 v4, s3, 9, v0
	s_mov_b32 s3, exec_lo
	s_wait_kmcnt 0x0
	s_delay_alu instid0(VALU_DEP_1)
	v_cmpx_gt_i32_e64 s2, v4
	s_cbranch_execz .LBB1_10
; %bb.1:
	s_clause 0x1
	s_load_b128 s[4:7], s[0:1], 0x8
	s_load_b96 s[8:10], s[0:1], 0x18
	s_wait_xcnt 0x0
	s_mov_b32 s0, exec_lo
                                        ; implicit-def: $vgpr0_vgpr1
	v_cmpx_ne_u32_e32 0, v4
	s_xor_b32 s0, exec_lo, s0
	s_cbranch_execz .LBB1_7
; %bb.2:
	s_wait_kmcnt 0x0
	v_cmp_lt_i64_e64 s1, s[4:5], 1
	v_mov_b64_e32 v[0:1], 0
	s_and_b32 vcc_lo, exec_lo, s1
	s_cbranch_vccnz .LBB1_6
; %bb.3:
	v_mov_b64_e32 v[2:3], s[4:5]
	v_add_nc_u32_e32 v5, s10, v4
	s_mov_b32 s1, 0
.LBB1_4:                                ; =>This Inner Loop Header: Depth=1
	s_delay_alu instid0(VALU_DEP_2) | instskip(NEXT) | instid1(VALU_DEP_1)
	v_sub_nc_u64_e32 v[6:7], v[2:3], v[0:1]
	v_lshrrev_b64 v[6:7], 1, v[6:7]
	s_delay_alu instid0(VALU_DEP_1) | instskip(NEXT) | instid1(VALU_DEP_1)
	v_add_nc_u64_e32 v[6:7], v[6:7], v[0:1]
	v_lshl_add_u64 v[8:9], v[6:7], 2, s[6:7]
	global_load_b32 v10, v[8:9], off
	s_wait_xcnt 0x0
	v_add_nc_u64_e32 v[8:9], 1, v[6:7]
	s_wait_loadcnt 0x0
	v_cmp_lt_i32_e32 vcc_lo, v10, v5
	v_dual_cndmask_b32 v3, v7, v3 :: v_dual_cndmask_b32 v2, v6, v2
	s_delay_alu instid0(VALU_DEP_3) | instskip(NEXT) | instid1(VALU_DEP_1)
	v_dual_cndmask_b32 v1, v1, v9 :: v_dual_cndmask_b32 v0, v0, v8
	v_cmp_ge_i64_e32 vcc_lo, v[0:1], v[2:3]
	s_or_b32 s1, vcc_lo, s1
	s_delay_alu instid0(SALU_CYCLE_1)
	s_and_not1_b32 exec_lo, exec_lo, s1
	s_cbranch_execnz .LBB1_4
; %bb.5:
	s_or_b32 exec_lo, exec_lo, s1
.LBB1_6:
	s_mov_b32 s7, 0
	s_mov_b32 s6, s10
	s_delay_alu instid0(VALU_DEP_1) | instid1(SALU_CYCLE_1)
	v_add_nc_u64_e32 v[0:1], s[6:7], v[0:1]
.LBB1_7:
	s_and_not1_saveexec_b32 s0, s0
	s_cbranch_execz .LBB1_9
; %bb.8:
	s_wait_kmcnt 0x0
	s_mov_b32 s7, 0
	s_mov_b32 s6, s10
	v_dual_mov_b32 v5, 0 :: v_dual_mov_b32 v4, s2
	s_add_nc_u64 s[4:5], s[4:5], s[6:7]
	v_mov_b64_e32 v[2:3], s[6:7]
	v_mov_b64_e32 v[0:1], s[4:5]
	global_store_b64 v5, v[2:3], s[8:9]
.LBB1_9:
	s_wait_xcnt 0x0
	s_or_b32 exec_lo, exec_lo, s0
	s_wait_kmcnt 0x0
	global_store_b64 v4, v[0:1], s[8:9] scale_offset
.LBB1_10:
	s_endpgm
	.section	.rodata,"a",@progbits
	.p2align	6, 0x0
	.amdhsa_kernel _ZN9rocsparseL14coo2csr_kernelILj512EliEEvT1_T0_PKS1_PS2_21rocsparse_index_base_
		.amdhsa_group_segment_fixed_size 0
		.amdhsa_private_segment_fixed_size 0
		.amdhsa_kernarg_size 36
		.amdhsa_user_sgpr_count 2
		.amdhsa_user_sgpr_dispatch_ptr 0
		.amdhsa_user_sgpr_queue_ptr 0
		.amdhsa_user_sgpr_kernarg_segment_ptr 1
		.amdhsa_user_sgpr_dispatch_id 0
		.amdhsa_user_sgpr_kernarg_preload_length 0
		.amdhsa_user_sgpr_kernarg_preload_offset 0
		.amdhsa_user_sgpr_private_segment_size 0
		.amdhsa_wavefront_size32 1
		.amdhsa_uses_dynamic_stack 0
		.amdhsa_enable_private_segment 0
		.amdhsa_system_sgpr_workgroup_id_x 1
		.amdhsa_system_sgpr_workgroup_id_y 0
		.amdhsa_system_sgpr_workgroup_id_z 0
		.amdhsa_system_sgpr_workgroup_info 0
		.amdhsa_system_vgpr_workitem_id 0
		.amdhsa_next_free_vgpr 11
		.amdhsa_next_free_sgpr 11
		.amdhsa_named_barrier_count 0
		.amdhsa_reserve_vcc 1
		.amdhsa_float_round_mode_32 0
		.amdhsa_float_round_mode_16_64 0
		.amdhsa_float_denorm_mode_32 3
		.amdhsa_float_denorm_mode_16_64 3
		.amdhsa_fp16_overflow 0
		.amdhsa_memory_ordered 1
		.amdhsa_forward_progress 1
		.amdhsa_inst_pref_size 3
		.amdhsa_round_robin_scheduling 0
		.amdhsa_exception_fp_ieee_invalid_op 0
		.amdhsa_exception_fp_denorm_src 0
		.amdhsa_exception_fp_ieee_div_zero 0
		.amdhsa_exception_fp_ieee_overflow 0
		.amdhsa_exception_fp_ieee_underflow 0
		.amdhsa_exception_fp_ieee_inexact 0
		.amdhsa_exception_int_div_zero 0
	.end_amdhsa_kernel
	.section	.text._ZN9rocsparseL14coo2csr_kernelILj512EliEEvT1_T0_PKS1_PS2_21rocsparse_index_base_,"axG",@progbits,_ZN9rocsparseL14coo2csr_kernelILj512EliEEvT1_T0_PKS1_PS2_21rocsparse_index_base_,comdat
.Lfunc_end1:
	.size	_ZN9rocsparseL14coo2csr_kernelILj512EliEEvT1_T0_PKS1_PS2_21rocsparse_index_base_, .Lfunc_end1-_ZN9rocsparseL14coo2csr_kernelILj512EliEEvT1_T0_PKS1_PS2_21rocsparse_index_base_
                                        ; -- End function
	.set _ZN9rocsparseL14coo2csr_kernelILj512EliEEvT1_T0_PKS1_PS2_21rocsparse_index_base_.num_vgpr, 11
	.set _ZN9rocsparseL14coo2csr_kernelILj512EliEEvT1_T0_PKS1_PS2_21rocsparse_index_base_.num_agpr, 0
	.set _ZN9rocsparseL14coo2csr_kernelILj512EliEEvT1_T0_PKS1_PS2_21rocsparse_index_base_.numbered_sgpr, 11
	.set _ZN9rocsparseL14coo2csr_kernelILj512EliEEvT1_T0_PKS1_PS2_21rocsparse_index_base_.num_named_barrier, 0
	.set _ZN9rocsparseL14coo2csr_kernelILj512EliEEvT1_T0_PKS1_PS2_21rocsparse_index_base_.private_seg_size, 0
	.set _ZN9rocsparseL14coo2csr_kernelILj512EliEEvT1_T0_PKS1_PS2_21rocsparse_index_base_.uses_vcc, 1
	.set _ZN9rocsparseL14coo2csr_kernelILj512EliEEvT1_T0_PKS1_PS2_21rocsparse_index_base_.uses_flat_scratch, 0
	.set _ZN9rocsparseL14coo2csr_kernelILj512EliEEvT1_T0_PKS1_PS2_21rocsparse_index_base_.has_dyn_sized_stack, 0
	.set _ZN9rocsparseL14coo2csr_kernelILj512EliEEvT1_T0_PKS1_PS2_21rocsparse_index_base_.has_recursion, 0
	.set _ZN9rocsparseL14coo2csr_kernelILj512EliEEvT1_T0_PKS1_PS2_21rocsparse_index_base_.has_indirect_call, 0
	.section	.AMDGPU.csdata,"",@progbits
; Kernel info:
; codeLenInByte = 356
; TotalNumSgprs: 13
; NumVgprs: 11
; ScratchSize: 0
; MemoryBound: 0
; FloatMode: 240
; IeeeMode: 1
; LDSByteSize: 0 bytes/workgroup (compile time only)
; SGPRBlocks: 0
; VGPRBlocks: 0
; NumSGPRsForWavesPerEU: 13
; NumVGPRsForWavesPerEU: 11
; NamedBarCnt: 0
; Occupancy: 16
; WaveLimiterHint : 0
; COMPUTE_PGM_RSRC2:SCRATCH_EN: 0
; COMPUTE_PGM_RSRC2:USER_SGPR: 2
; COMPUTE_PGM_RSRC2:TRAP_HANDLER: 0
; COMPUTE_PGM_RSRC2:TGID_X_EN: 1
; COMPUTE_PGM_RSRC2:TGID_Y_EN: 0
; COMPUTE_PGM_RSRC2:TGID_Z_EN: 0
; COMPUTE_PGM_RSRC2:TIDIG_COMP_CNT: 0
	.section	.text._ZN9rocsparseL14coo2csr_kernelILj512EilEEvT1_T0_PKS1_PS2_21rocsparse_index_base_,"axG",@progbits,_ZN9rocsparseL14coo2csr_kernelILj512EilEEvT1_T0_PKS1_PS2_21rocsparse_index_base_,comdat
	.globl	_ZN9rocsparseL14coo2csr_kernelILj512EilEEvT1_T0_PKS1_PS2_21rocsparse_index_base_ ; -- Begin function _ZN9rocsparseL14coo2csr_kernelILj512EilEEvT1_T0_PKS1_PS2_21rocsparse_index_base_
	.p2align	8
	.type	_ZN9rocsparseL14coo2csr_kernelILj512EilEEvT1_T0_PKS1_PS2_21rocsparse_index_base_,@function
_ZN9rocsparseL14coo2csr_kernelILj512EilEEvT1_T0_PKS1_PS2_21rocsparse_index_base_: ; @_ZN9rocsparseL14coo2csr_kernelILj512EilEEvT1_T0_PKS1_PS2_21rocsparse_index_base_
; %bb.0:
	s_load_b64 s[2:3], s[0:1], 0x0
	s_bfe_u32 s4, ttmp6, 0x4000c
	s_and_b32 s5, ttmp6, 15
	s_add_co_i32 s4, s4, 1
	s_getreg_b32 s6, hwreg(HW_REG_IB_STS2, 6, 4)
	s_mul_i32 s4, ttmp9, s4
	v_mov_b32_e32 v1, 0
	s_add_co_i32 s5, s5, s4
	s_cmp_eq_u32 s6, 0
	s_cselect_b32 s4, ttmp9, s5
	s_delay_alu instid0(SALU_CYCLE_1) | instskip(SKIP_2) | instid1(VALU_DEP_1)
	v_lshl_or_b32 v0, s4, 9, v0
	s_mov_b32 s4, exec_lo
	s_wait_kmcnt 0x0
	v_cmpx_gt_i64_e64 s[2:3], v[0:1]
	s_cbranch_execz .LBB2_11
; %bb.1:
	s_clause 0x2
	s_load_b32 s10, s[0:1], 0x8
	s_load_b128 s[4:7], s[0:1], 0x10
	s_load_b32 s8, s[0:1], 0x20
	s_wait_xcnt 0x0
	s_mov_b32 s0, exec_lo
                                        ; implicit-def: $vgpr2
	v_cmpx_ne_u32_e32 0, v0
	s_xor_b32 s0, exec_lo, s0
	s_cbranch_execz .LBB2_8
; %bb.2:
	s_wait_kmcnt 0x0
	s_cmp_lt_i32 s10, 1
	s_cbranch_scc1 .LBB2_6
; %bb.3:
	s_mov_b32 s9, 0
	v_dual_mov_b32 v4, 0 :: v_dual_mov_b32 v5, s10
	v_add_nc_u64_e32 v[2:3], s[8:9], v[0:1]
.LBB2_4:                                ; =>This Inner Loop Header: Depth=1
	s_delay_alu instid0(VALU_DEP_2) | instskip(NEXT) | instid1(VALU_DEP_1)
	v_sub_nc_u32_e32 v6, v5, v4
	v_lshrrev_b32_e32 v6, 1, v6
	s_delay_alu instid0(VALU_DEP_1) | instskip(SKIP_4) | instid1(VALU_DEP_1)
	v_add_nc_u32_e32 v8, v6, v4
	global_load_b64 v[6:7], v8, s[4:5] scale_offset
	s_wait_loadcnt 0x0
	v_cmp_lt_i64_e32 vcc_lo, v[6:7], v[2:3]
	v_add_nc_u32_e32 v6, 1, v8
	v_cndmask_b32_e32 v4, v4, v6, vcc_lo
	v_cndmask_b32_e32 v5, v8, v5, vcc_lo
	s_delay_alu instid0(VALU_DEP_1) | instskip(SKIP_1) | instid1(SALU_CYCLE_1)
	v_cmp_ge_i32_e32 vcc_lo, v4, v5
	s_or_b32 s9, vcc_lo, s9
	s_and_not1_b32 exec_lo, exec_lo, s9
	s_cbranch_execnz .LBB2_4
; %bb.5:
	s_or_b32 exec_lo, exec_lo, s9
	s_branch .LBB2_7
.LBB2_6:
	v_mov_b32_e32 v4, 0
.LBB2_7:
	s_delay_alu instid0(VALU_DEP_1)
	v_add_nc_u32_e32 v2, s8, v4
.LBB2_8:
	s_and_not1_saveexec_b32 s0, s0
	s_cbranch_execz .LBB2_10
; %bb.9:
	s_wait_kmcnt 0x0
	s_add_co_i32 s1, s8, s10
	v_mov_b64_e32 v[0:1], s[2:3]
	v_dual_mov_b32 v3, 0 :: v_dual_mov_b32 v4, s8
	v_mov_b32_e32 v2, s1
	global_store_b32 v3, v4, s[6:7]
.LBB2_10:
	s_wait_xcnt 0x0
	s_or_b32 exec_lo, exec_lo, s0
	s_wait_kmcnt 0x0
	v_lshl_add_u64 v[0:1], v[0:1], 2, s[6:7]
	global_store_b32 v[0:1], v2, off
.LBB2_11:
	s_endpgm
	.section	.rodata,"a",@progbits
	.p2align	6, 0x0
	.amdhsa_kernel _ZN9rocsparseL14coo2csr_kernelILj512EilEEvT1_T0_PKS1_PS2_21rocsparse_index_base_
		.amdhsa_group_segment_fixed_size 0
		.amdhsa_private_segment_fixed_size 0
		.amdhsa_kernarg_size 36
		.amdhsa_user_sgpr_count 2
		.amdhsa_user_sgpr_dispatch_ptr 0
		.amdhsa_user_sgpr_queue_ptr 0
		.amdhsa_user_sgpr_kernarg_segment_ptr 1
		.amdhsa_user_sgpr_dispatch_id 0
		.amdhsa_user_sgpr_kernarg_preload_length 0
		.amdhsa_user_sgpr_kernarg_preload_offset 0
		.amdhsa_user_sgpr_private_segment_size 0
		.amdhsa_wavefront_size32 1
		.amdhsa_uses_dynamic_stack 0
		.amdhsa_enable_private_segment 0
		.amdhsa_system_sgpr_workgroup_id_x 1
		.amdhsa_system_sgpr_workgroup_id_y 0
		.amdhsa_system_sgpr_workgroup_id_z 0
		.amdhsa_system_sgpr_workgroup_info 0
		.amdhsa_system_vgpr_workitem_id 0
		.amdhsa_next_free_vgpr 9
		.amdhsa_next_free_sgpr 11
		.amdhsa_named_barrier_count 0
		.amdhsa_reserve_vcc 1
		.amdhsa_float_round_mode_32 0
		.amdhsa_float_round_mode_16_64 0
		.amdhsa_float_denorm_mode_32 3
		.amdhsa_float_denorm_mode_16_64 3
		.amdhsa_fp16_overflow 0
		.amdhsa_memory_ordered 1
		.amdhsa_forward_progress 1
		.amdhsa_inst_pref_size 3
		.amdhsa_round_robin_scheduling 0
		.amdhsa_exception_fp_ieee_invalid_op 0
		.amdhsa_exception_fp_denorm_src 0
		.amdhsa_exception_fp_ieee_div_zero 0
		.amdhsa_exception_fp_ieee_overflow 0
		.amdhsa_exception_fp_ieee_underflow 0
		.amdhsa_exception_fp_ieee_inexact 0
		.amdhsa_exception_int_div_zero 0
	.end_amdhsa_kernel
	.section	.text._ZN9rocsparseL14coo2csr_kernelILj512EilEEvT1_T0_PKS1_PS2_21rocsparse_index_base_,"axG",@progbits,_ZN9rocsparseL14coo2csr_kernelILj512EilEEvT1_T0_PKS1_PS2_21rocsparse_index_base_,comdat
.Lfunc_end2:
	.size	_ZN9rocsparseL14coo2csr_kernelILj512EilEEvT1_T0_PKS1_PS2_21rocsparse_index_base_, .Lfunc_end2-_ZN9rocsparseL14coo2csr_kernelILj512EilEEvT1_T0_PKS1_PS2_21rocsparse_index_base_
                                        ; -- End function
	.set _ZN9rocsparseL14coo2csr_kernelILj512EilEEvT1_T0_PKS1_PS2_21rocsparse_index_base_.num_vgpr, 9
	.set _ZN9rocsparseL14coo2csr_kernelILj512EilEEvT1_T0_PKS1_PS2_21rocsparse_index_base_.num_agpr, 0
	.set _ZN9rocsparseL14coo2csr_kernelILj512EilEEvT1_T0_PKS1_PS2_21rocsparse_index_base_.numbered_sgpr, 11
	.set _ZN9rocsparseL14coo2csr_kernelILj512EilEEvT1_T0_PKS1_PS2_21rocsparse_index_base_.num_named_barrier, 0
	.set _ZN9rocsparseL14coo2csr_kernelILj512EilEEvT1_T0_PKS1_PS2_21rocsparse_index_base_.private_seg_size, 0
	.set _ZN9rocsparseL14coo2csr_kernelILj512EilEEvT1_T0_PKS1_PS2_21rocsparse_index_base_.uses_vcc, 1
	.set _ZN9rocsparseL14coo2csr_kernelILj512EilEEvT1_T0_PKS1_PS2_21rocsparse_index_base_.uses_flat_scratch, 0
	.set _ZN9rocsparseL14coo2csr_kernelILj512EilEEvT1_T0_PKS1_PS2_21rocsparse_index_base_.has_dyn_sized_stack, 0
	.set _ZN9rocsparseL14coo2csr_kernelILj512EilEEvT1_T0_PKS1_PS2_21rocsparse_index_base_.has_recursion, 0
	.set _ZN9rocsparseL14coo2csr_kernelILj512EilEEvT1_T0_PKS1_PS2_21rocsparse_index_base_.has_indirect_call, 0
	.section	.AMDGPU.csdata,"",@progbits
; Kernel info:
; codeLenInByte = 328
; TotalNumSgprs: 13
; NumVgprs: 9
; ScratchSize: 0
; MemoryBound: 0
; FloatMode: 240
; IeeeMode: 1
; LDSByteSize: 0 bytes/workgroup (compile time only)
; SGPRBlocks: 0
; VGPRBlocks: 0
; NumSGPRsForWavesPerEU: 13
; NumVGPRsForWavesPerEU: 9
; NamedBarCnt: 0
; Occupancy: 16
; WaveLimiterHint : 0
; COMPUTE_PGM_RSRC2:SCRATCH_EN: 0
; COMPUTE_PGM_RSRC2:USER_SGPR: 2
; COMPUTE_PGM_RSRC2:TRAP_HANDLER: 0
; COMPUTE_PGM_RSRC2:TGID_X_EN: 1
; COMPUTE_PGM_RSRC2:TGID_Y_EN: 0
; COMPUTE_PGM_RSRC2:TGID_Z_EN: 0
; COMPUTE_PGM_RSRC2:TIDIG_COMP_CNT: 0
	.section	.text._ZN9rocsparseL14coo2csr_kernelILj512EllEEvT1_T0_PKS1_PS2_21rocsparse_index_base_,"axG",@progbits,_ZN9rocsparseL14coo2csr_kernelILj512EllEEvT1_T0_PKS1_PS2_21rocsparse_index_base_,comdat
	.globl	_ZN9rocsparseL14coo2csr_kernelILj512EllEEvT1_T0_PKS1_PS2_21rocsparse_index_base_ ; -- Begin function _ZN9rocsparseL14coo2csr_kernelILj512EllEEvT1_T0_PKS1_PS2_21rocsparse_index_base_
	.p2align	8
	.type	_ZN9rocsparseL14coo2csr_kernelILj512EllEEvT1_T0_PKS1_PS2_21rocsparse_index_base_,@function
_ZN9rocsparseL14coo2csr_kernelILj512EllEEvT1_T0_PKS1_PS2_21rocsparse_index_base_: ; @_ZN9rocsparseL14coo2csr_kernelILj512EllEEvT1_T0_PKS1_PS2_21rocsparse_index_base_
; %bb.0:
	s_load_b256 s[4:11], s[0:1], 0x0
	s_bfe_u32 s2, ttmp6, 0x4000c
	s_and_b32 s3, ttmp6, 15
	s_add_co_i32 s2, s2, 1
	s_getreg_b32 s12, hwreg(HW_REG_IB_STS2, 6, 4)
	s_mul_i32 s2, ttmp9, s2
	v_mov_b32_e32 v1, 0
	s_add_co_i32 s3, s3, s2
	s_cmp_eq_u32 s12, 0
	s_cselect_b32 s2, ttmp9, s3
	s_mov_b32 s3, 0
	v_lshl_or_b32 v0, s2, 9, v0
	s_mov_b32 s2, exec_lo
	s_wait_kmcnt 0x0
	s_delay_alu instid0(VALU_DEP_1)
	v_cmpx_gt_i64_e64 s[4:5], v[0:1]
	s_cbranch_execz .LBB3_9
; %bb.1:
	s_load_b32 s2, s[0:1], 0x20
	s_wait_xcnt 0x0
	s_mov_b32 s0, exec_lo
                                        ; implicit-def: $vgpr2_vgpr3
	v_cmpx_ne_u32_e32 0, v0
	s_xor_b32 s0, exec_lo, s0
	s_cbranch_execz .LBB3_6
; %bb.2:
	v_cmp_lt_i64_e64 s1, s[6:7], 1
	s_and_b32 vcc_lo, exec_lo, s1
	s_cbranch_vccnz .LBB3_10
; %bb.3:
	s_wait_kmcnt 0x0
	v_add_nc_u64_e32 v[4:5], s[2:3], v[0:1]
	v_mov_b64_e32 v[2:3], 0
	v_mov_b64_e32 v[6:7], s[6:7]
	s_mov_b32 s1, 0
.LBB3_4:                                ; =>This Inner Loop Header: Depth=1
	s_delay_alu instid0(VALU_DEP_1) | instskip(NEXT) | instid1(VALU_DEP_1)
	v_sub_nc_u64_e32 v[8:9], v[6:7], v[2:3]
	v_lshrrev_b64 v[8:9], 1, v[8:9]
	s_delay_alu instid0(VALU_DEP_1) | instskip(NEXT) | instid1(VALU_DEP_1)
	v_add_nc_u64_e32 v[8:9], v[8:9], v[2:3]
	v_lshl_add_u64 v[10:11], v[8:9], 3, s[8:9]
	v_add_nc_u64_e32 v[12:13], 1, v[8:9]
	global_load_b64 v[10:11], v[10:11], off
	s_wait_loadcnt 0x0
	v_cmp_lt_i64_e32 vcc_lo, v[10:11], v[4:5]
	v_dual_cndmask_b32 v7, v9, v7 :: v_dual_cndmask_b32 v6, v8, v6
	v_dual_cndmask_b32 v3, v3, v13 :: v_dual_cndmask_b32 v2, v2, v12
	s_delay_alu instid0(VALU_DEP_1) | instskip(SKIP_1) | instid1(SALU_CYCLE_1)
	v_cmp_ge_i64_e32 vcc_lo, v[2:3], v[6:7]
	s_or_b32 s1, vcc_lo, s1
	s_and_not1_b32 exec_lo, exec_lo, s1
	s_cbranch_execnz .LBB3_4
; %bb.5:
	s_or_b32 exec_lo, exec_lo, s1
.LBB3_6:
	s_and_not1_saveexec_b32 s0, s0
	s_cbranch_execz .LBB3_8
.LBB3_7:
	s_wait_kmcnt 0x0
	v_mov_b64_e32 v[4:5], s[2:3]
	v_mov_b64_e32 v[2:3], s[6:7]
	;; [unrolled: 1-line block ×3, first 2 shown]
	v_mov_b32_e32 v6, 0
	global_store_b64 v6, v[4:5], s[10:11]
.LBB3_8:
	s_wait_xcnt 0x0
	s_or_b32 exec_lo, exec_lo, s0
	s_wait_kmcnt 0x0
	v_add_nc_u64_e32 v[2:3], s[2:3], v[2:3]
	v_lshl_add_u64 v[0:1], v[0:1], 3, s[10:11]
	global_store_b64 v[0:1], v[2:3], off
.LBB3_9:
	s_endpgm
.LBB3_10:
	v_mov_b64_e32 v[2:3], 0
	s_and_not1_saveexec_b32 s0, s0
	s_cbranch_execnz .LBB3_7
	s_branch .LBB3_8
	.section	.rodata,"a",@progbits
	.p2align	6, 0x0
	.amdhsa_kernel _ZN9rocsparseL14coo2csr_kernelILj512EllEEvT1_T0_PKS1_PS2_21rocsparse_index_base_
		.amdhsa_group_segment_fixed_size 0
		.amdhsa_private_segment_fixed_size 0
		.amdhsa_kernarg_size 36
		.amdhsa_user_sgpr_count 2
		.amdhsa_user_sgpr_dispatch_ptr 0
		.amdhsa_user_sgpr_queue_ptr 0
		.amdhsa_user_sgpr_kernarg_segment_ptr 1
		.amdhsa_user_sgpr_dispatch_id 0
		.amdhsa_user_sgpr_kernarg_preload_length 0
		.amdhsa_user_sgpr_kernarg_preload_offset 0
		.amdhsa_user_sgpr_private_segment_size 0
		.amdhsa_wavefront_size32 1
		.amdhsa_uses_dynamic_stack 0
		.amdhsa_enable_private_segment 0
		.amdhsa_system_sgpr_workgroup_id_x 1
		.amdhsa_system_sgpr_workgroup_id_y 0
		.amdhsa_system_sgpr_workgroup_id_z 0
		.amdhsa_system_sgpr_workgroup_info 0
		.amdhsa_system_vgpr_workitem_id 0
		.amdhsa_next_free_vgpr 14
		.amdhsa_next_free_sgpr 13
		.amdhsa_named_barrier_count 0
		.amdhsa_reserve_vcc 1
		.amdhsa_float_round_mode_32 0
		.amdhsa_float_round_mode_16_64 0
		.amdhsa_float_denorm_mode_32 3
		.amdhsa_float_denorm_mode_16_64 3
		.amdhsa_fp16_overflow 0
		.amdhsa_memory_ordered 1
		.amdhsa_forward_progress 1
		.amdhsa_inst_pref_size 3
		.amdhsa_round_robin_scheduling 0
		.amdhsa_exception_fp_ieee_invalid_op 0
		.amdhsa_exception_fp_denorm_src 0
		.amdhsa_exception_fp_ieee_div_zero 0
		.amdhsa_exception_fp_ieee_overflow 0
		.amdhsa_exception_fp_ieee_underflow 0
		.amdhsa_exception_fp_ieee_inexact 0
		.amdhsa_exception_int_div_zero 0
	.end_amdhsa_kernel
	.section	.text._ZN9rocsparseL14coo2csr_kernelILj512EllEEvT1_T0_PKS1_PS2_21rocsparse_index_base_,"axG",@progbits,_ZN9rocsparseL14coo2csr_kernelILj512EllEEvT1_T0_PKS1_PS2_21rocsparse_index_base_,comdat
.Lfunc_end3:
	.size	_ZN9rocsparseL14coo2csr_kernelILj512EllEEvT1_T0_PKS1_PS2_21rocsparse_index_base_, .Lfunc_end3-_ZN9rocsparseL14coo2csr_kernelILj512EllEEvT1_T0_PKS1_PS2_21rocsparse_index_base_
                                        ; -- End function
	.set _ZN9rocsparseL14coo2csr_kernelILj512EllEEvT1_T0_PKS1_PS2_21rocsparse_index_base_.num_vgpr, 14
	.set _ZN9rocsparseL14coo2csr_kernelILj512EllEEvT1_T0_PKS1_PS2_21rocsparse_index_base_.num_agpr, 0
	.set _ZN9rocsparseL14coo2csr_kernelILj512EllEEvT1_T0_PKS1_PS2_21rocsparse_index_base_.numbered_sgpr, 13
	.set _ZN9rocsparseL14coo2csr_kernelILj512EllEEvT1_T0_PKS1_PS2_21rocsparse_index_base_.num_named_barrier, 0
	.set _ZN9rocsparseL14coo2csr_kernelILj512EllEEvT1_T0_PKS1_PS2_21rocsparse_index_base_.private_seg_size, 0
	.set _ZN9rocsparseL14coo2csr_kernelILj512EllEEvT1_T0_PKS1_PS2_21rocsparse_index_base_.uses_vcc, 1
	.set _ZN9rocsparseL14coo2csr_kernelILj512EllEEvT1_T0_PKS1_PS2_21rocsparse_index_base_.uses_flat_scratch, 0
	.set _ZN9rocsparseL14coo2csr_kernelILj512EllEEvT1_T0_PKS1_PS2_21rocsparse_index_base_.has_dyn_sized_stack, 0
	.set _ZN9rocsparseL14coo2csr_kernelILj512EllEEvT1_T0_PKS1_PS2_21rocsparse_index_base_.has_recursion, 0
	.set _ZN9rocsparseL14coo2csr_kernelILj512EllEEvT1_T0_PKS1_PS2_21rocsparse_index_base_.has_indirect_call, 0
	.section	.AMDGPU.csdata,"",@progbits
; Kernel info:
; codeLenInByte = 340
; TotalNumSgprs: 15
; NumVgprs: 14
; ScratchSize: 0
; MemoryBound: 0
; FloatMode: 240
; IeeeMode: 1
; LDSByteSize: 0 bytes/workgroup (compile time only)
; SGPRBlocks: 0
; VGPRBlocks: 0
; NumSGPRsForWavesPerEU: 15
; NumVGPRsForWavesPerEU: 14
; NamedBarCnt: 0
; Occupancy: 16
; WaveLimiterHint : 0
; COMPUTE_PGM_RSRC2:SCRATCH_EN: 0
; COMPUTE_PGM_RSRC2:USER_SGPR: 2
; COMPUTE_PGM_RSRC2:TRAP_HANDLER: 0
; COMPUTE_PGM_RSRC2:TGID_X_EN: 1
; COMPUTE_PGM_RSRC2:TGID_Y_EN: 0
; COMPUTE_PGM_RSRC2:TGID_Z_EN: 0
; COMPUTE_PGM_RSRC2:TIDIG_COMP_CNT: 0
	.section	.AMDGPU.gpr_maximums,"",@progbits
	.set amdgpu.max_num_vgpr, 0
	.set amdgpu.max_num_agpr, 0
	.set amdgpu.max_num_sgpr, 0
	.section	.AMDGPU.csdata,"",@progbits
	.type	__hip_cuid_849c64eb58c12fcb,@object ; @__hip_cuid_849c64eb58c12fcb
	.section	.bss,"aw",@nobits
	.globl	__hip_cuid_849c64eb58c12fcb
__hip_cuid_849c64eb58c12fcb:
	.byte	0                               ; 0x0
	.size	__hip_cuid_849c64eb58c12fcb, 1

	.ident	"AMD clang version 22.0.0git (https://github.com/RadeonOpenCompute/llvm-project roc-7.2.4 26084 f58b06dce1f9c15707c5f808fd002e18c2accf7e)"
	.section	".note.GNU-stack","",@progbits
	.addrsig
	.addrsig_sym __hip_cuid_849c64eb58c12fcb
	.amdgpu_metadata
---
amdhsa.kernels:
  - .args:
      - .offset:         0
        .size:           4
        .value_kind:     by_value
      - .offset:         4
        .size:           4
        .value_kind:     by_value
      - .address_space:  global
        .offset:         8
        .size:           8
        .value_kind:     global_buffer
      - .address_space:  global
        .offset:         16
        .size:           8
        .value_kind:     global_buffer
      - .offset:         24
        .size:           4
        .value_kind:     by_value
    .group_segment_fixed_size: 0
    .kernarg_segment_align: 8
    .kernarg_segment_size: 28
    .language:       OpenCL C
    .language_version:
      - 2
      - 0
    .max_flat_workgroup_size: 512
    .name:           _ZN9rocsparseL14coo2csr_kernelILj512EiiEEvT1_T0_PKS1_PS2_21rocsparse_index_base_
    .private_segment_fixed_size: 0
    .sgpr_count:     11
    .sgpr_spill_count: 0
    .symbol:         _ZN9rocsparseL14coo2csr_kernelILj512EiiEEvT1_T0_PKS1_PS2_21rocsparse_index_base_.kd
    .uniform_work_group_size: 1
    .uses_dynamic_stack: false
    .vgpr_count:     7
    .vgpr_spill_count: 0
    .wavefront_size: 32
  - .args:
      - .offset:         0
        .size:           4
        .value_kind:     by_value
      - .offset:         8
        .size:           8
        .value_kind:     by_value
      - .address_space:  global
        .offset:         16
        .size:           8
        .value_kind:     global_buffer
      - .address_space:  global
        .offset:         24
        .size:           8
        .value_kind:     global_buffer
      - .offset:         32
        .size:           4
        .value_kind:     by_value
    .group_segment_fixed_size: 0
    .kernarg_segment_align: 8
    .kernarg_segment_size: 36
    .language:       OpenCL C
    .language_version:
      - 2
      - 0
    .max_flat_workgroup_size: 512
    .name:           _ZN9rocsparseL14coo2csr_kernelILj512EliEEvT1_T0_PKS1_PS2_21rocsparse_index_base_
    .private_segment_fixed_size: 0
    .sgpr_count:     13
    .sgpr_spill_count: 0
    .symbol:         _ZN9rocsparseL14coo2csr_kernelILj512EliEEvT1_T0_PKS1_PS2_21rocsparse_index_base_.kd
    .uniform_work_group_size: 1
    .uses_dynamic_stack: false
    .vgpr_count:     11
    .vgpr_spill_count: 0
    .wavefront_size: 32
  - .args:
      - .offset:         0
        .size:           8
        .value_kind:     by_value
      - .offset:         8
        .size:           4
        .value_kind:     by_value
      - .address_space:  global
        .offset:         16
        .size:           8
        .value_kind:     global_buffer
      - .address_space:  global
        .offset:         24
        .size:           8
        .value_kind:     global_buffer
      - .offset:         32
        .size:           4
        .value_kind:     by_value
    .group_segment_fixed_size: 0
    .kernarg_segment_align: 8
    .kernarg_segment_size: 36
    .language:       OpenCL C
    .language_version:
      - 2
      - 0
    .max_flat_workgroup_size: 512
    .name:           _ZN9rocsparseL14coo2csr_kernelILj512EilEEvT1_T0_PKS1_PS2_21rocsparse_index_base_
    .private_segment_fixed_size: 0
    .sgpr_count:     13
    .sgpr_spill_count: 0
    .symbol:         _ZN9rocsparseL14coo2csr_kernelILj512EilEEvT1_T0_PKS1_PS2_21rocsparse_index_base_.kd
    .uniform_work_group_size: 1
    .uses_dynamic_stack: false
    .vgpr_count:     9
    .vgpr_spill_count: 0
    .wavefront_size: 32
  - .args:
      - .offset:         0
        .size:           8
        .value_kind:     by_value
      - .offset:         8
        .size:           8
        .value_kind:     by_value
      - .address_space:  global
        .offset:         16
        .size:           8
        .value_kind:     global_buffer
      - .address_space:  global
        .offset:         24
        .size:           8
        .value_kind:     global_buffer
      - .offset:         32
        .size:           4
        .value_kind:     by_value
    .group_segment_fixed_size: 0
    .kernarg_segment_align: 8
    .kernarg_segment_size: 36
    .language:       OpenCL C
    .language_version:
      - 2
      - 0
    .max_flat_workgroup_size: 512
    .name:           _ZN9rocsparseL14coo2csr_kernelILj512EllEEvT1_T0_PKS1_PS2_21rocsparse_index_base_
    .private_segment_fixed_size: 0
    .sgpr_count:     15
    .sgpr_spill_count: 0
    .symbol:         _ZN9rocsparseL14coo2csr_kernelILj512EllEEvT1_T0_PKS1_PS2_21rocsparse_index_base_.kd
    .uniform_work_group_size: 1
    .uses_dynamic_stack: false
    .vgpr_count:     14
    .vgpr_spill_count: 0
    .wavefront_size: 32
amdhsa.target:   amdgcn-amd-amdhsa--gfx1250
amdhsa.version:
  - 1
  - 2
...

	.end_amdgpu_metadata
